;; amdgpu-corpus repo=ROCm/rocFFT kind=compiled arch=gfx950 opt=O3
	.text
	.amdgcn_target "amdgcn-amd-amdhsa--gfx950"
	.amdhsa_code_object_version 6
	.protected	fft_rtc_back_len1331_factors_11_11_11_wgs_121_tpt_121_dp_op_CI_CI_sbrc_xy_z_diag_dirReg ; -- Begin function fft_rtc_back_len1331_factors_11_11_11_wgs_121_tpt_121_dp_op_CI_CI_sbrc_xy_z_diag_dirReg
	.globl	fft_rtc_back_len1331_factors_11_11_11_wgs_121_tpt_121_dp_op_CI_CI_sbrc_xy_z_diag_dirReg
	.p2align	8
	.type	fft_rtc_back_len1331_factors_11_11_11_wgs_121_tpt_121_dp_op_CI_CI_sbrc_xy_z_diag_dirReg,@function
fft_rtc_back_len1331_factors_11_11_11_wgs_121_tpt_121_dp_op_CI_CI_sbrc_xy_z_diag_dirReg: ; @fft_rtc_back_len1331_factors_11_11_11_wgs_121_tpt_121_dp_op_CI_CI_sbrc_xy_z_diag_dirReg
; %bb.0:
	s_load_dwordx8 s[16:23], s[0:1], 0x0
	v_mov_b32_e32 v6, 0x25d
	v_add_u32_e32 v13, 0x79, v0
	v_add_u32_e32 v15, 0xf2, v0
	v_mov_b32_e32 v31, 0
	s_waitcnt lgkmcnt(0)
	s_load_dwordx4 s[4:7], s[20:21], 0x8
	s_movk_i32 s10, 0xf2
	v_cmp_gt_u32_e64 s[10:11], s10, v0
	s_mov_b32 s34, 0xfd768dbf
	s_mov_b32 s36, 0x7f775887
	s_waitcnt lgkmcnt(0)
	s_mul_i32 s3, s4, s6
	v_cvt_f32_u32_e32 v1, s3
	s_load_dwordx2 s[4:5], s[0:1], 0x20
	s_load_dwordx4 s[12:15], s[0:1], 0x58
	s_load_dwordx4 s[28:31], s[22:23], 0x0
	s_load_dword s6, s[22:23], 0x10
	s_sub_i32 s0, 0, s3
	s_waitcnt lgkmcnt(0)
	s_load_dwordx4 s[24:27], s[4:5], 0x0
	v_rcp_iflag_f32_e32 v1, v1
	s_waitcnt lgkmcnt(0)
	s_load_dword s27, s[4:5], 0x10
	s_mov_b32 s31, 0
	v_mov_b32_e32 v55, s6
	v_mul_f32_e32 v1, 0x4f7ffffe, v1
	v_cvt_u32_f32_e32 v1, v1
	s_mov_b32 s35, 0xbfd207e7
	s_mov_b32 s38, 0x9bcd5057
	;; [unrolled: 1-line block ×3, first 2 shown]
	v_readfirstlane_b32 s1, v1
	s_mul_i32 s0, s0, s1
	s_mul_hi_u32 s0, s1, s0
	s_add_i32 s1, s1, s0
	s_mul_hi_u32 s0, s2, s1
	s_mul_i32 s1, s0, s3
	s_sub_i32 s1, s2, s1
	s_add_i32 s7, s0, 1
	s_sub_i32 s8, s1, s3
	s_cmp_ge_u32 s1, s3
	s_cselect_b32 s0, s7, s0
	s_cselect_b32 s1, s8, s1
	s_add_i32 s7, s0, 1
	s_cmp_ge_u32 s1, s3
	s_cselect_b32 s33, s7, s0
	s_mul_i32 s3, s33, s3
	s_sub_i32 s2, s2, s3
	s_mul_hi_u32 s3, s2, 0xecf56bf
	s_sub_i32 s7, s2, s3
	s_lshr_b32 s7, s7, 1
	s_add_i32 s7, s7, s3
	s_lshr_b32 s3, s7, 6
	s_mul_i32 s7, s3, 0x79
	s_lshl_b64 s[0:1], s[18:19], 3
	s_sub_i32 s18, s2, s7
	s_add_i32 s3, s3, s18
	s_mul_i32 s7, s25, s18
	s_mul_hi_u32 s8, s24, s18
	s_mul_hi_u32 s9, s3, 0xc4f3e1ff
	s_add_i32 s19, s8, s7
	s_lshr_b32 s7, s9, 10
	s_mulk_i32 s7, 0x533
	s_sub_i32 s25, s3, s7
	s_mul_i32 s2, s18, s6
	s_mul_i32 s3, s25, s30
	s_add_i32 s30, s3, s2
	s_add_u32 s2, s22, s0
	s_addc_u32 s3, s23, s1
	s_load_dwordx2 s[2:3], s[2:3], 0x0
	v_mad_u64_u32 v[2:3], s[8:9], s28, v0, 0
	v_mov_b32_e32 v4, v3
	v_mov_b32_e32 v1, 0xfffffc38
	s_waitcnt lgkmcnt(0)
	s_mul_i32 s3, s3, s33
	s_mul_hi_u32 s7, s2, s33
	s_add_i32 s3, s7, s3
	s_add_u32 s0, s4, s0
	s_addc_u32 s1, s5, s1
	s_load_dwordx2 s[20:21], s[0:1], 0x0
	v_mad_u64_u32 v[4:5], s[0:1], s29, v0, v[4:5]
	s_mul_i32 s2, s2, s33
	v_mov_b32_e32 v3, v4
	s_waitcnt lgkmcnt(0)
	s_mul_i32 s0, s21, s33
	s_mul_hi_u32 s1, s20, s33
	s_add_i32 s21, s1, s0
	s_lshl_b64 s[0:1], s[2:3], 4
	s_add_u32 s2, s12, s0
	s_addc_u32 s3, s13, s1
	s_lshl_b64 s[0:1], s[30:31], 4
	s_add_u32 s22, s2, s0
	s_addc_u32 s23, s3, s1
	s_movk_i32 s0, 0x3c8
	v_lshl_add_u64 v[10:11], v[2:3], 4, s[22:23]
	v_mov_b32_e32 v2, 0x16b
	s_movk_i32 s1, 0x34f
	v_cmp_gt_u32_e32 vcc, s0, v0
	v_mov_b32_e32 v3, 0xfffffcb1
	v_mov_b32_e32 v4, 0x1e4
	s_movk_i32 s4, 0x2d6
	v_cndmask_b32_e32 v52, v1, v2, vcc
	v_cmp_gt_u32_e32 vcc, s1, v0
	v_mov_b32_e32 v5, 0xfffffd2a
	v_add_u32_e32 v1, v52, v0
	v_cndmask_b32_e32 v53, v3, v4, vcc
	v_cmp_gt_u32_e32 vcc, s4, v0
	v_add_u32_e32 v21, v53, v0
	v_mad_u64_u32 v[2:3], s[0:1], s28, v13, 0
	v_cndmask_b32_e32 v54, v5, v6, vcc
	v_add_u32_e32 v23, v54, v0
	v_mad_u64_u32 v[6:7], s[0:1], s28, v1, 0
	v_mad_u64_u32 v[4:5], s[0:1], s28, v15, 0
	;; [unrolled: 1-line block ×4, first 2 shown]
	v_mov_b32_e32 v16, v7
	s_movk_i32 s2, 0x3c7
	v_mov_b32_e32 v12, v3
	v_mov_b32_e32 v14, v5
	;; [unrolled: 1-line block ×4, first 2 shown]
	v_mad_u64_u32 v[16:17], s[0:1], s29, v1, v[16:17]
	s_movk_i32 s3, 0x34e
	v_cmp_lt_u32_e32 vcc, s2, v0
	v_mad_u64_u32 v[12:13], s[0:1], s29, v13, v[12:13]
	v_mad_u64_u32 v[14:15], s[0:1], s29, v15, v[14:15]
	;; [unrolled: 1-line block ×4, first 2 shown]
	v_mov_b32_e32 v7, v16
	s_movk_i32 s9, 0x2d5
	v_cndmask_b32_e32 v30, 0, v55, vcc
	v_mov_b32_e32 v5, v14
	v_mov_b32_e32 v9, v20
	v_lshl_add_u64 v[14:15], v[6:7], 4, s[22:23]
	v_cmp_lt_u32_e64 s[0:1], s3, v0
	v_mov_b32_e32 v3, v12
	v_mov_b32_e32 v19, v22
	v_lshl_add_u64 v[22:23], v[8:9], 4, s[22:23]
	v_lshl_add_u64 v[24:25], v[30:31], 4, v[14:15]
	v_cndmask_b32_e64 v30, 0, v55, s[0:1]
	v_cmp_lt_u32_e64 s[2:3], s9, v0
	s_movk_i32 s5, 0x25d
	v_lshl_add_u64 v[12:13], v[2:3], 4, s[22:23]
	v_lshl_add_u64 v[20:21], v[4:5], 4, s[22:23]
	;; [unrolled: 1-line block ×3, first 2 shown]
	v_cndmask_b32_e64 v30, 0, v55, s[2:3]
	v_lshl_add_u64 v[18:19], v[18:19], 4, s[22:23]
	global_load_dwordx4 v[2:5], v[10:11], off
	global_load_dwordx4 v[6:9], v[12:13], off
	s_nop 0
	global_load_dwordx4 v[10:13], v[20:21], off
	global_load_dwordx4 v[14:17], v[24:25], off
	v_lshl_add_u64 v[28:29], v[30:31], 4, v[18:19]
	global_load_dwordx4 v[18:21], v[26:27], off
	global_load_dwordx4 v[22:25], v[28:29], off
	v_mov_b32_e32 v1, 0xfffffda3
	v_mov_b32_e32 v26, 0x2d6
	v_cmp_gt_u32_e64 s[4:5], s5, v0
	s_movk_i32 s7, 0x1e4
	v_cmp_gt_u32_e64 s[6:7], s7, v0
	v_cndmask_b32_e64 v56, v1, v26, s[4:5]
	v_add_u32_e32 v1, v56, v0
	v_mad_u64_u32 v[26:27], s[4:5], s28, v1, 0
	v_mov_b32_e32 v28, v27
	v_mad_u64_u32 v[28:29], s[4:5], s29, v1, v[28:29]
	s_movk_i32 s4, 0x25c
	v_mov_b32_e32 v27, v28
	v_cmp_lt_u32_e64 s[4:5], s4, v0
	v_lshl_add_u64 v[26:27], v[26:27], 4, s[22:23]
	v_mov_b32_e32 v1, 0xfffffe1c
	v_cndmask_b32_e64 v30, 0, v55, s[4:5]
	v_lshl_add_u64 v[36:37], v[30:31], 4, v[26:27]
	v_mov_b32_e32 v26, 0x34f
	v_cndmask_b32_e64 v57, v1, v26, s[6:7]
	v_add_u32_e32 v1, v57, v0
	v_mad_u64_u32 v[26:27], s[6:7], s28, v1, 0
	v_mov_b32_e32 v28, v27
	v_mad_u64_u32 v[28:29], s[6:7], s29, v1, v[28:29]
	s_movk_i32 s6, 0x1e3
	v_mov_b32_e32 v27, v28
	v_cmp_lt_u32_e64 s[6:7], s6, v0
	s_movk_i32 s8, 0x16b
	v_lshl_add_u64 v[26:27], v[26:27], 4, s[22:23]
	v_cndmask_b32_e64 v30, 0, v55, s[6:7]
	v_lshl_add_u64 v[38:39], v[30:31], 4, v[26:27]
	v_mov_b32_e32 v1, 0xfffffe95
	v_mov_b32_e32 v30, 0x3c8
	v_cmp_gt_u32_e64 s[8:9], s8, v0
	global_load_dwordx4 v[26:29], v[36:37], off
	global_load_dwordx4 v[32:35], v[38:39], off
	v_cndmask_b32_e64 v58, v1, v30, s[8:9]
	v_add_u32_e32 v1, v58, v0
	v_mad_u64_u32 v[36:37], s[8:9], s28, v1, 0
	v_mov_b32_e32 v30, v37
	v_mad_u64_u32 v[38:39], s[8:9], s29, v1, v[30:31]
	s_movk_i32 s8, 0x16a
	v_mov_b32_e32 v37, v38
	v_cmp_lt_u32_e64 s[8:9], s8, v0
	v_lshl_add_u64 v[36:37], v[36:37], 4, s[22:23]
	v_mov_b32_e32 v1, 0xffffff0e
	v_cndmask_b32_e64 v30, 0, v55, s[8:9]
	v_lshl_add_u64 v[44:45], v[30:31], 4, v[36:37]
	v_mov_b32_e32 v30, 0x441
	v_cndmask_b32_e64 v59, v1, v30, s[10:11]
	v_add_u32_e32 v1, v59, v0
	v_mad_u64_u32 v[36:37], s[10:11], s28, v1, 0
	v_mov_b32_e32 v30, v37
	v_mad_u64_u32 v[38:39], s[10:11], s29, v1, v[30:31]
	s_movk_i32 s10, 0xf1
	v_mov_b32_e32 v37, v38
	v_cmp_lt_u32_e64 s[10:11], s10, v0
	s_movk_i32 s30, 0x79
	v_lshl_add_u64 v[36:37], v[36:37], 4, s[22:23]
	v_cndmask_b32_e64 v30, 0, v55, s[10:11]
	v_lshl_add_u64 v[46:47], v[30:31], 4, v[36:37]
	v_mov_b32_e32 v1, 0xffffff87
	v_mov_b32_e32 v30, 0x4ba
	v_cmp_gt_u32_e64 s[12:13], s30, v0
	global_load_dwordx4 v[36:39], v[44:45], off
	global_load_dwordx4 v[40:43], v[46:47], off
	v_cndmask_b32_e64 v60, v1, v30, s[12:13]
	v_add_u32_e32 v1, v60, v0
	v_mad_u64_u32 v[48:49], s[12:13], s28, v1, 0
	v_mov_b32_e32 v30, v49
	v_mad_u64_u32 v[50:51], s[12:13], s29, v1, v[30:31]
	s_movk_i32 s12, 0x78
	v_mov_b32_e32 v49, v50
	v_cmp_lt_u32_e64 s[12:13], s12, v0
	v_lshl_add_u64 v[44:45], v[48:49], 4, s[22:23]
	v_lshl_add_u32 v1, v0, 4, 0
	v_cndmask_b32_e64 v30, 0, v55, s[12:13]
	v_lshl_add_u64 v[44:45], v[30:31], 4, v[44:45]
	global_load_dwordx4 v[44:47], v[44:45], off
	v_cndmask_b32_e64 v30, 0, 1, vcc
	s_waitcnt vmcnt(10)
	ds_write_b128 v1, v[2:5]
	s_waitcnt vmcnt(9)
	ds_write_b128 v1, v[6:9] offset:1936
	s_waitcnt vmcnt(8)
	ds_write_b128 v1, v[10:13] offset:3872
	v_lshlrev_b32_e32 v6, 4, v52
	v_lshlrev_b32_e32 v7, 4, v30
	v_cndmask_b32_e64 v48, 0, 1, s[0:1]
	v_add3_u32 v6, v1, v6, v7
	s_waitcnt vmcnt(7)
	ds_write_b128 v6, v[14:17]
	v_lshlrev_b32_e32 v6, 4, v53
	v_lshlrev_b32_e32 v7, 4, v48
	v_cndmask_b32_e64 v2, 0, 1, s[2:3]
	v_add3_u32 v6, v1, v6, v7
	s_waitcnt vmcnt(6)
	ds_write_b128 v6, v[18:21]
	v_lshlrev_b32_e32 v6, 4, v54
	v_lshlrev_b32_e32 v2, 4, v2
	v_cndmask_b32_e64 v3, 0, 1, s[4:5]
	v_add3_u32 v2, v1, v6, v2
	s_waitcnt vmcnt(5)
	ds_write_b128 v2, v[22:25]
	v_lshlrev_b32_e32 v2, 4, v56
	v_lshlrev_b32_e32 v3, 4, v3
	v_cndmask_b32_e64 v4, 0, 1, s[6:7]
	v_add3_u32 v2, v1, v2, v3
	v_lshlrev_b32_e32 v3, 4, v4
	v_cndmask_b32_e64 v5, 0, 1, s[8:9]
	v_cndmask_b32_e64 v49, 0, 1, s[10:11]
	;; [unrolled: 1-line block ×3, first 2 shown]
	s_mov_b32 s0, 0xf8bb580b
	s_mov_b32 s1, 0xbfe14ced
	;; [unrolled: 1-line block ×4, first 2 shown]
	s_waitcnt vmcnt(4)
	ds_write_b128 v2, v[26:29]
	v_lshlrev_b32_e32 v2, 4, v57
	v_add3_u32 v2, v1, v2, v3
	s_waitcnt vmcnt(3)
	ds_write_b128 v2, v[32:35]
	v_lshlrev_b32_e32 v2, 4, v58
	v_lshlrev_b32_e32 v3, 4, v5
	v_add3_u32 v2, v1, v2, v3
	v_lshlrev_b32_e32 v3, 4, v49
	s_mov_b32 s4, 0x43842ef
	s_mov_b32 s28, 0xbb3a28a1
	;; [unrolled: 1-line block ×21, first 2 shown]
	s_movk_i32 s46, 0xb0
	v_mul_u32_u24_e32 v30, 0x1746, v0
	s_mul_i32 s20, s20, s33
	s_mul_i32 s18, s24, s18
	s_waitcnt vmcnt(2)
	ds_write_b128 v2, v[36:39]
	v_lshlrev_b32_e32 v2, 4, v59
	v_add3_u32 v2, v1, v2, v3
	s_waitcnt vmcnt(1)
	ds_write_b128 v2, v[40:43]
	v_lshlrev_b32_e32 v2, 4, v60
	v_lshlrev_b32_e32 v3, 4, v50
	v_add3_u32 v2, v1, v2, v3
	s_waitcnt vmcnt(0)
	ds_write_b128 v2, v[44:47]
	s_waitcnt lgkmcnt(0)
	s_barrier
	ds_read_b128 v[6:9], v1
	ds_read_b128 v[32:35], v1 offset:1936
	ds_read_b128 v[38:41], v1 offset:3872
	;; [unrolled: 1-line block ×10, first 2 shown]
	s_waitcnt lgkmcnt(9)
	v_add_f64 v[2:3], v[6:7], v[32:33]
	v_add_f64 v[4:5], v[8:9], v[34:35]
	s_waitcnt lgkmcnt(8)
	v_add_f64 v[2:3], v[2:3], v[38:39]
	v_add_f64 v[4:5], v[4:5], v[40:41]
	;; [unrolled: 3-line block ×10, first 2 shown]
	v_add_f64 v[44:45], v[32:33], -v[54:55]
	v_add_f64 v[54:55], v[34:35], -v[56:57]
	v_add_f64 v[4:5], v[4:5], v[56:57]
	v_add_f64 v[46:47], v[34:35], v[56:57]
	v_mul_f64 v[56:57], v[54:55], s[0:1]
	v_add_f64 v[32:33], v[38:39], v[58:59]
	v_add_f64 v[36:37], v[40:41], v[60:61]
	v_add_f64 v[34:35], v[38:39], -v[58:59]
	v_add_f64 v[38:39], v[40:41], -v[60:61]
	v_add_f64 v[40:41], v[26:27], v[48:49]
	v_add_f64 v[42:43], v[28:29], v[50:51]
	v_add_f64 v[26:27], v[26:27], -v[48:49]
	v_add_f64 v[28:29], v[28:29], -v[50:51]
	v_add_f64 v[48:49], v[18:19], v[22:23]
	v_add_f64 v[50:51], v[20:21], v[24:25]
	v_add_f64 v[18:19], v[18:19], -v[22:23]
	v_add_f64 v[20:21], v[20:21], -v[24:25]
	v_add_f64 v[22:23], v[10:11], v[14:15]
	v_add_f64 v[24:25], v[12:13], v[16:17]
	v_add_f64 v[10:11], v[10:11], -v[14:15]
	v_add_f64 v[12:13], v[12:13], -v[16:17]
	v_fma_f64 v[14:15], s[2:3], v[52:53], v[56:57]
	v_fma_f64 v[16:17], v[52:53], s[2:3], -v[56:57]
	v_mul_f64 v[56:57], v[54:55], s[10:11]
	v_mul_f64 v[60:61], v[54:55], s[4:5]
	;; [unrolled: 1-line block ×4, first 2 shown]
	v_fma_f64 v[58:59], s[8:9], v[52:53], v[56:57]
	v_fma_f64 v[56:57], v[52:53], s[8:9], -v[56:57]
	v_fma_f64 v[62:63], s[6:7], v[52:53], v[60:61]
	v_fma_f64 v[60:61], v[52:53], s[6:7], -v[60:61]
	;; [unrolled: 2-line block ×4, first 2 shown]
	v_mul_f64 v[54:55], v[46:47], s[2:3]
	v_fma_f64 v[70:71], s[40:41], v[44:45], v[54:55]
	v_mul_f64 v[72:73], v[46:47], s[8:9]
	v_mul_f64 v[76:77], v[46:47], s[6:7]
	;; [unrolled: 1-line block ×4, first 2 shown]
	v_fmac_f64_e32 v[54:55], s[0:1], v[44:45]
	v_fma_f64 v[74:75], s[22:23], v[44:45], v[72:73]
	v_fmac_f64_e32 v[72:73], s[10:11], v[44:45]
	v_fma_f64 v[78:79], s[12:13], v[44:45], v[76:77]
	;; [unrolled: 2-line block ×4, first 2 shown]
	v_fmac_f64_e32 v[46:47], s[34:35], v[44:45]
	v_add_f64 v[14:15], v[6:7], v[14:15]
	v_add_f64 v[44:45], v[8:9], v[70:71]
	;; [unrolled: 1-line block ×11, first 2 shown]
	v_mul_f64 v[6:7], v[38:39], s[10:11]
	v_add_f64 v[54:55], v[8:9], v[54:55]
	v_add_f64 v[74:75], v[8:9], v[74:75]
	;; [unrolled: 1-line block ×9, first 2 shown]
	v_fma_f64 v[8:9], s[8:9], v[32:33], v[6:7]
	v_mul_f64 v[46:47], v[36:37], s[8:9]
	v_add_f64 v[8:9], v[8:9], v[14:15]
	v_fma_f64 v[14:15], s[22:23], v[34:35], v[46:47]
	v_add_f64 v[14:15], v[14:15], v[44:45]
	v_mul_f64 v[44:45], v[28:29], s[4:5]
	v_fma_f64 v[16:17], s[6:7], v[40:41], v[44:45]
	v_mul_f64 v[52:53], v[42:43], s[6:7]
	v_add_f64 v[8:9], v[16:17], v[8:9]
	v_fma_f64 v[16:17], s[12:13], v[26:27], v[52:53]
	v_mul_f64 v[64:65], v[20:21], s[28:29]
	v_add_f64 v[14:15], v[16:17], v[14:15]
	;; [unrolled: 3-line block ×3, first 2 shown]
	v_fma_f64 v[16:17], s[42:43], v[18:19], v[92:93]
	v_mul_f64 v[94:95], v[12:13], s[34:35]
	v_fma_f64 v[6:7], v[32:33], s[8:9], -v[6:7]
	v_fmac_f64_e32 v[46:47], s[10:11], v[34:35]
	v_add_f64 v[16:17], v[16:17], v[14:15]
	v_fma_f64 v[14:15], s[38:39], v[22:23], v[94:95]
	v_add_f64 v[6:7], v[6:7], v[70:71]
	v_add_f64 v[46:47], v[46:47], v[54:55]
	v_fma_f64 v[44:45], v[40:41], s[6:7], -v[44:45]
	v_fmac_f64_e32 v[52:53], s[4:5], v[26:27]
	v_add_f64 v[14:15], v[14:15], v[8:9]
	v_mul_f64 v[8:9], v[24:25], s[38:39]
	v_add_f64 v[6:7], v[44:45], v[6:7]
	v_add_f64 v[44:45], v[52:53], v[46:47]
	v_fmac_f64_e32 v[92:93], s[28:29], v[18:19]
	v_fma_f64 v[96:97], s[44:45], v[10:11], v[8:9]
	v_add_f64 v[44:45], v[92:93], v[44:45]
	v_fmac_f64_e32 v[8:9], s[34:35], v[10:11]
	v_mul_f64 v[52:53], v[38:39], s[28:29]
	v_add_f64 v[8:9], v[8:9], v[44:45]
	v_fma_f64 v[44:45], s[36:37], v[32:33], v[52:53]
	v_fma_f64 v[46:47], v[48:49], s[36:37], -v[64:65]
	v_add_f64 v[44:45], v[44:45], v[58:59]
	v_mul_f64 v[58:59], v[28:29], s[44:45]
	v_add_f64 v[6:7], v[46:47], v[6:7]
	v_fma_f64 v[46:47], v[22:23], s[38:39], -v[94:95]
	v_mul_f64 v[54:55], v[36:37], s[36:37]
	v_fma_f64 v[64:65], s[38:39], v[40:41], v[58:59]
	v_add_f64 v[6:7], v[46:47], v[6:7]
	v_fma_f64 v[46:47], s[42:43], v[34:35], v[54:55]
	v_add_f64 v[44:45], v[64:65], v[44:45]
	v_mul_f64 v[64:65], v[42:43], s[38:39]
	v_add_f64 v[46:47], v[46:47], v[74:75]
	v_fma_f64 v[70:71], s[34:35], v[26:27], v[64:65]
	v_add_f64 v[46:47], v[70:71], v[46:47]
	v_mul_f64 v[70:71], v[20:21], s[12:13]
	v_fma_f64 v[74:75], s[6:7], v[48:49], v[70:71]
	v_add_f64 v[44:45], v[74:75], v[44:45]
	v_mul_f64 v[74:75], v[50:51], s[6:7]
	v_fma_f64 v[52:53], v[32:33], s[36:37], -v[52:53]
	v_fma_f64 v[92:93], s[4:5], v[18:19], v[74:75]
	v_add_f64 v[52:53], v[52:53], v[56:57]
	v_fmac_f64_e32 v[54:55], s[28:29], v[34:35]
	v_fma_f64 v[56:57], v[40:41], s[38:39], -v[58:59]
	v_add_f64 v[46:47], v[92:93], v[46:47]
	v_mul_f64 v[92:93], v[12:13], s[40:41]
	v_add_f64 v[54:55], v[54:55], v[72:73]
	v_add_f64 v[52:53], v[56:57], v[52:53]
	v_fmac_f64_e32 v[64:65], s[44:45], v[26:27]
	v_fma_f64 v[56:57], v[48:49], s[6:7], -v[70:71]
	v_add_f64 v[54:55], v[64:65], v[54:55]
	v_add_f64 v[52:53], v[56:57], v[52:53]
	v_fma_f64 v[56:57], v[22:23], s[2:3], -v[92:93]
	v_mul_f64 v[64:65], v[38:39], s[44:45]
	v_add_f64 v[52:53], v[56:57], v[52:53]
	v_fma_f64 v[56:57], s[38:39], v[32:33], v[64:65]
	v_mul_f64 v[70:71], v[28:29], s[22:23]
	v_add_f64 v[56:57], v[56:57], v[62:63]
	v_mul_f64 v[62:63], v[36:37], s[38:39]
	v_fma_f64 v[72:73], s[8:9], v[40:41], v[70:71]
	v_fmac_f64_e32 v[74:75], s[12:13], v[18:19]
	v_fma_f64 v[58:59], s[34:35], v[34:35], v[62:63]
	v_add_f64 v[56:57], v[72:73], v[56:57]
	v_mul_f64 v[72:73], v[42:43], s[8:9]
	v_add_f64 v[54:55], v[74:75], v[54:55]
	v_add_f64 v[58:59], v[58:59], v[78:79]
	v_fma_f64 v[74:75], s[10:11], v[26:27], v[72:73]
	v_add_f64 v[58:59], v[74:75], v[58:59]
	v_mul_f64 v[74:75], v[20:21], s[0:1]
	v_fma_f64 v[78:79], s[2:3], v[48:49], v[74:75]
	v_add_f64 v[56:57], v[78:79], v[56:57]
	v_mul_f64 v[78:79], v[50:51], s[2:3]
	v_fma_f64 v[64:65], v[32:33], s[38:39], -v[64:65]
	v_fma_f64 v[94:95], s[2:3], v[22:23], v[92:93]
	v_fma_f64 v[92:93], s[40:41], v[18:19], v[78:79]
	v_add_f64 v[60:61], v[64:65], v[60:61]
	v_fma_f64 v[64:65], v[40:41], s[8:9], -v[70:71]
	v_add_f64 v[58:59], v[92:93], v[58:59]
	v_mul_f64 v[92:93], v[12:13], s[28:29]
	v_add_f64 v[60:61], v[64:65], v[60:61]
	v_fma_f64 v[64:65], v[48:49], s[2:3], -v[74:75]
	v_fmac_f64_e32 v[62:63], s[44:45], v[34:35]
	v_add_f64 v[60:61], v[64:65], v[60:61]
	v_fma_f64 v[64:65], v[22:23], s[36:37], -v[92:93]
	v_mul_f64 v[70:71], v[38:39], s[12:13]
	v_add_f64 v[62:63], v[62:63], v[76:77]
	v_fmac_f64_e32 v[72:73], s[22:23], v[26:27]
	v_add_f64 v[60:61], v[64:65], v[60:61]
	v_fma_f64 v[64:65], s[6:7], v[32:33], v[70:71]
	v_mul_f64 v[74:75], v[28:29], s[0:1]
	v_add_f64 v[62:63], v[72:73], v[62:63]
	v_add_f64 v[64:65], v[64:65], v[66:67]
	v_mul_f64 v[72:73], v[36:37], s[6:7]
	v_fma_f64 v[76:77], s[2:3], v[40:41], v[74:75]
	v_fmac_f64_e32 v[78:79], s[0:1], v[18:19]
	v_fma_f64 v[66:67], s[4:5], v[34:35], v[72:73]
	v_add_f64 v[64:65], v[76:77], v[64:65]
	v_mul_f64 v[76:77], v[42:43], s[2:3]
	v_add_f64 v[62:63], v[78:79], v[62:63]
	v_add_f64 v[66:67], v[66:67], v[82:83]
	v_fma_f64 v[78:79], s[40:41], v[26:27], v[76:77]
	v_fmac_f64_e32 v[72:73], s[12:13], v[34:35]
	v_mul_f64 v[38:39], v[38:39], s[40:41]
	v_add_f64 v[44:45], v[94:95], v[44:45]
	v_mul_f64 v[94:95], v[24:25], s[2:3]
	v_add_f64 v[66:67], v[78:79], v[66:67]
	;; [unrolled: 2-line block ×3, first 2 shown]
	v_fma_f64 v[80:81], s[2:3], v[32:33], v[38:39]
	v_mul_f64 v[36:37], v[36:37], s[2:3]
	v_add_f64 v[16:17], v[96:97], v[16:17]
	v_fma_f64 v[96:97], s[0:1], v[10:11], v[94:95]
	v_fmac_f64_e32 v[94:95], s[40:41], v[10:11]
	v_fma_f64 v[82:83], s[38:39], v[48:49], v[78:79]
	v_fma_f64 v[70:71], v[32:33], s[6:7], -v[70:71]
	v_add_f64 v[68:69], v[80:81], v[68:69]
	v_fma_f64 v[80:81], s[0:1], v[34:35], v[36:37]
	v_fmac_f64_e32 v[36:37], s[40:41], v[34:35]
	v_add_f64 v[54:55], v[94:95], v[54:55]
	v_fma_f64 v[94:95], s[36:37], v[22:23], v[92:93]
	v_add_f64 v[64:65], v[82:83], v[64:65]
	v_mul_f64 v[82:83], v[50:51], s[38:39]
	v_add_f64 v[70:71], v[70:71], v[86:87]
	v_add_f64 v[34:35], v[36:37], v[90:91]
	v_fma_f64 v[36:37], v[40:41], s[2:3], -v[74:75]
	v_mul_f64 v[28:29], v[28:29], s[28:29]
	v_add_f64 v[56:57], v[94:95], v[56:57]
	v_mul_f64 v[94:95], v[24:25], s[36:37]
	v_fma_f64 v[92:93], s[44:45], v[18:19], v[82:83]
	v_fma_f64 v[32:33], v[32:33], s[2:3], -v[38:39]
	v_add_f64 v[36:37], v[36:37], v[70:71]
	v_fmac_f64_e32 v[76:77], s[0:1], v[26:27]
	v_fma_f64 v[70:71], s[36:37], v[40:41], v[28:29]
	v_mul_f64 v[42:43], v[42:43], s[36:37]
	v_add_f64 v[46:47], v[96:97], v[46:47]
	v_fma_f64 v[96:97], s[42:43], v[10:11], v[94:95]
	v_fmac_f64_e32 v[94:95], s[28:29], v[10:11]
	v_add_f64 v[66:67], v[92:93], v[66:67]
	v_mul_f64 v[92:93], v[12:13], s[22:23]
	v_add_f64 v[32:33], v[32:33], v[88:89]
	v_add_f64 v[38:39], v[76:77], v[72:73]
	;; [unrolled: 1-line block ×3, first 2 shown]
	v_fma_f64 v[70:71], s[42:43], v[26:27], v[42:43]
	v_fma_f64 v[28:29], v[40:41], s[36:37], -v[28:29]
	v_fmac_f64_e32 v[42:43], s[28:29], v[26:27]
	v_fmac_f64_e32 v[82:83], s[34:35], v[18:19]
	v_add_f64 v[62:63], v[94:95], v[62:63]
	v_fma_f64 v[94:95], s[8:9], v[22:23], v[92:93]
	v_add_f64 v[80:81], v[80:81], v[84:85]
	v_add_f64 v[28:29], v[28:29], v[32:33]
	;; [unrolled: 1-line block ×3, first 2 shown]
	v_fma_f64 v[32:33], v[48:49], s[38:39], -v[78:79]
	v_add_f64 v[34:35], v[82:83], v[38:39]
	v_mul_f64 v[20:21], v[20:21], s[22:23]
	v_mul_f64 v[38:39], v[50:51], s[8:9]
	v_add_f64 v[64:65], v[94:95], v[64:65]
	v_mul_f64 v[94:95], v[24:25], s[8:9]
	v_add_f64 v[70:71], v[70:71], v[80:81]
	v_add_f64 v[32:33], v[32:33], v[36:37]
	v_fma_f64 v[36:37], s[8:9], v[48:49], v[20:21]
	v_fma_f64 v[40:41], s[10:11], v[18:19], v[38:39]
	v_fma_f64 v[20:21], v[48:49], s[8:9], -v[20:21]
	v_fmac_f64_e32 v[38:39], s[22:23], v[18:19]
	v_mul_f64 v[12:13], v[12:13], s[4:5]
	v_mul_f64 v[24:25], v[24:25], s[6:7]
	v_add_f64 v[58:59], v[96:97], v[58:59]
	v_fma_f64 v[96:97], s[10:11], v[10:11], v[94:95]
	v_add_f64 v[36:37], v[36:37], v[68:69]
	v_add_f64 v[40:41], v[40:41], v[70:71]
	;; [unrolled: 1-line block ×4, first 2 shown]
	v_fma_f64 v[18:19], v[22:23], s[8:9], -v[92:93]
	v_fmac_f64_e32 v[94:95], s[22:23], v[10:11]
	v_fma_f64 v[26:27], s[6:7], v[22:23], v[12:13]
	v_fma_f64 v[28:29], s[12:13], v[10:11], v[24:25]
	v_fma_f64 v[12:13], v[22:23], s[6:7], -v[12:13]
	v_fmac_f64_e32 v[24:25], s[4:5], v[10:11]
	v_mad_u32_u24 v10, v0, s46, 0
	v_add_f64 v[66:67], v[96:97], v[66:67]
	v_add_f64 v[18:19], v[18:19], v[32:33]
	;; [unrolled: 1-line block ×7, first 2 shown]
	s_barrier
	ds_write_b128 v10, v[2:5]
	ds_write_b128 v10, v[14:17] offset:16
	ds_write_b128 v10, v[44:47] offset:32
	ds_write_b128 v10, v[56:59] offset:48
	ds_write_b128 v10, v[64:67] offset:64
	ds_write_b128 v10, v[26:29] offset:80
	ds_write_b128 v10, v[22:25] offset:96
	ds_write_b128 v10, v[18:21] offset:112
	ds_write_b128 v10, v[60:63] offset:128
	ds_write_b128 v10, v[52:55] offset:144
	ds_write_b128 v10, v[6:9] offset:160
	v_mov_b32_e32 v2, 11
	v_mul_lo_u16_sdwa v2, v30, v2 dst_sel:DWORD dst_unused:UNUSED_PAD src0_sel:WORD_1 src1_sel:DWORD
	v_sub_u16_e32 v68, v0, v2
	v_mul_u32_u24_e32 v2, 10, v68
	v_lshlrev_b32_e32 v36, 4, v2
	s_waitcnt lgkmcnt(0)
	s_barrier
	global_load_dwordx4 v[2:5], v36, s[16:17]
	global_load_dwordx4 v[6:9], v36, s[16:17] offset:16
	global_load_dwordx4 v[10:13], v36, s[16:17] offset:32
	;; [unrolled: 1-line block ×9, first 2 shown]
	ds_read_b128 v[36:39], v1 offset:1936
	ds_read_b128 v[70:73], v1
	ds_read_b128 v[40:43], v1 offset:3872
	s_movk_i32 s46, 0x790
	s_waitcnt vmcnt(9) lgkmcnt(2)
	v_mul_f64 v[52:53], v[38:39], v[4:5]
	v_mul_f64 v[4:5], v[36:37], v[4:5]
	v_fmac_f64_e32 v[52:53], v[36:37], v[2:3]
	v_fma_f64 v[36:37], v[38:39], v[2:3], -v[4:5]
	ds_read_b128 v[2:5], v1 offset:5808
	s_waitcnt vmcnt(8) lgkmcnt(1)
	v_mul_f64 v[56:57], v[42:43], v[8:9]
	v_mul_f64 v[8:9], v[40:41], v[8:9]
	v_fmac_f64_e32 v[56:57], v[40:41], v[6:7]
	v_fma_f64 v[74:75], v[42:43], v[6:7], -v[8:9]
	s_waitcnt vmcnt(7) lgkmcnt(0)
	v_mul_f64 v[76:77], v[4:5], v[12:13]
	ds_read_b128 v[6:9], v1 offset:7744
	v_fmac_f64_e32 v[76:77], v[2:3], v[10:11]
	v_mul_f64 v[2:3], v[2:3], v[12:13]
	v_fma_f64 v[78:79], v[4:5], v[10:11], -v[2:3]
	ds_read_b128 v[2:5], v1 offset:9680
	s_waitcnt vmcnt(6) lgkmcnt(1)
	v_mul_f64 v[58:59], v[8:9], v[16:17]
	ds_read_b128 v[10:13], v1 offset:11616
	v_fmac_f64_e32 v[58:59], v[6:7], v[14:15]
	v_mul_f64 v[6:7], v[6:7], v[16:17]
	v_fma_f64 v[60:61], v[8:9], v[14:15], -v[6:7]
	s_waitcnt vmcnt(5) lgkmcnt(1)
	v_mul_f64 v[6:7], v[4:5], v[20:21]
	v_fmac_f64_e32 v[6:7], v[2:3], v[18:19]
	v_mul_f64 v[2:3], v[2:3], v[20:21]
	v_fma_f64 v[8:9], v[4:5], v[18:19], -v[2:3]
	ds_read_b128 v[2:5], v1 offset:13552
	s_waitcnt vmcnt(4) lgkmcnt(1)
	v_mul_f64 v[38:39], v[12:13], v[24:25]
	v_fmac_f64_e32 v[38:39], v[10:11], v[22:23]
	v_mul_f64 v[10:11], v[10:11], v[24:25]
	v_fma_f64 v[42:43], v[12:13], v[22:23], -v[10:11]
	ds_read_b128 v[10:13], v1 offset:15488
	;; [unrolled: 6-line block ×4, first 2 shown]
	s_waitcnt vmcnt(1) lgkmcnt(1)
	v_mul_f64 v[16:17], v[4:5], v[46:47]
	v_fmac_f64_e32 v[16:17], v[2:3], v[44:45]
	v_mul_f64 v[2:3], v[2:3], v[46:47]
	v_fma_f64 v[24:25], v[4:5], v[44:45], -v[2:3]
	v_add_f64 v[4:5], v[72:73], v[36:37]
	s_waitcnt vmcnt(0) lgkmcnt(0)
	v_mul_f64 v[14:15], v[12:13], v[50:51]
	v_mul_f64 v[2:3], v[10:11], v[50:51]
	v_add_f64 v[4:5], v[4:5], v[74:75]
	v_fmac_f64_e32 v[14:15], v[10:11], v[48:49]
	v_fma_f64 v[10:11], v[12:13], v[48:49], -v[2:3]
	v_add_f64 v[2:3], v[70:71], v[52:53]
	v_add_f64 v[4:5], v[4:5], v[78:79]
	;; [unrolled: 1-line block ×17, first 2 shown]
	v_add_f64 v[10:11], v[36:37], -v[10:11]
	v_add_f64 v[2:3], v[2:3], v[16:17]
	v_add_f64 v[12:13], v[52:53], v[14:15]
	v_mul_f64 v[20:21], v[10:11], s[0:1]
	v_mul_f64 v[26:27], v[10:11], s[10:11]
	;; [unrolled: 1-line block ×5, first 2 shown]
	v_add_f64 v[2:3], v[2:3], v[14:15]
	v_add_f64 v[14:15], v[52:53], -v[14:15]
	v_fma_f64 v[22:23], s[2:3], v[12:13], v[20:21]
	v_fma_f64 v[20:21], v[12:13], s[2:3], -v[20:21]
	v_fma_f64 v[28:29], s[8:9], v[12:13], v[26:27]
	v_fma_f64 v[26:27], v[12:13], s[8:9], -v[26:27]
	;; [unrolled: 2-line block ×5, first 2 shown]
	v_mul_f64 v[12:13], v[18:19], s[2:3]
	v_mul_f64 v[46:47], v[18:19], s[8:9]
	v_fma_f64 v[36:37], s[40:41], v[14:15], v[12:13]
	v_fmac_f64_e32 v[12:13], s[0:1], v[14:15]
	v_fma_f64 v[50:51], s[22:23], v[14:15], v[46:47]
	v_mul_f64 v[86:87], v[18:19], s[6:7]
	v_mul_f64 v[88:89], v[18:19], s[36:37]
	;; [unrolled: 1-line block ×3, first 2 shown]
	v_add_f64 v[94:95], v[70:71], v[22:23]
	v_add_f64 v[22:23], v[74:75], v[24:25]
	v_add_f64 v[24:25], v[74:75], -v[24:25]
	v_fmac_f64_e32 v[46:47], s[10:11], v[14:15]
	v_fma_f64 v[52:53], s[12:13], v[14:15], v[86:87]
	v_fmac_f64_e32 v[86:87], s[4:5], v[14:15]
	v_fma_f64 v[90:91], s[42:43], v[14:15], v[88:89]
	v_fmac_f64_e32 v[88:89], s[28:29], v[14:15]
	v_fma_f64 v[18:19], s[44:45], v[14:15], v[92:93]
	v_fmac_f64_e32 v[92:93], s[34:35], v[14:15]
	v_add_f64 v[98:99], v[70:71], v[20:21]
	v_add_f64 v[100:101], v[72:73], v[12:13]
	;; [unrolled: 1-line block ×12, first 2 shown]
	v_mul_f64 v[70:71], v[24:25], s[10:11]
	v_add_f64 v[96:97], v[72:73], v[36:37]
	v_add_f64 v[64:65], v[72:73], v[46:47]
	;; [unrolled: 1-line block ×8, first 2 shown]
	v_add_f64 v[16:17], v[56:57], -v[16:17]
	v_fma_f64 v[32:33], s[8:9], v[14:15], v[70:71]
	v_mul_f64 v[72:73], v[22:23], s[8:9]
	v_add_f64 v[56:57], v[32:33], v[94:95]
	v_fma_f64 v[32:33], s[22:23], v[16:17], v[72:73]
	v_add_f64 v[48:49], v[78:79], -v[84:85]
	v_add_f64 v[74:75], v[32:33], v[96:97]
	v_add_f64 v[32:33], v[76:77], v[82:83]
	v_add_f64 v[34:35], v[76:77], -v[82:83]
	v_add_f64 v[44:45], v[78:79], v[84:85]
	v_mul_f64 v[76:77], v[48:49], s[4:5]
	v_fma_f64 v[78:79], s[6:7], v[32:33], v[76:77]
	v_mul_f64 v[82:83], v[44:45], s[6:7]
	v_add_f64 v[78:79], v[78:79], v[56:57]
	v_fma_f64 v[56:57], s[12:13], v[34:35], v[82:83]
	v_add_f64 v[84:85], v[60:61], v[80:81]
	v_add_f64 v[80:81], v[60:61], -v[80:81]
	v_add_f64 v[74:75], v[56:57], v[74:75]
	v_add_f64 v[56:57], v[58:59], v[62:63]
	v_mul_f64 v[86:87], v[80:81], s[28:29]
	v_add_f64 v[92:93], v[8:9], v[42:43]
	v_add_f64 v[42:43], v[8:9], -v[42:43]
	v_fma_f64 v[60:61], s[36:37], v[56:57], v[86:87]
	v_add_f64 v[88:89], v[6:7], v[38:39]
	v_add_f64 v[90:91], v[6:7], -v[38:39]
	v_mul_f64 v[6:7], v[42:43], s[34:35]
	v_add_f64 v[58:59], v[58:59], -v[62:63]
	v_add_f64 v[60:61], v[60:61], v[78:79]
	v_mul_f64 v[78:79], v[84:85], s[36:37]
	v_fma_f64 v[8:9], s[38:39], v[88:89], v[6:7]
	v_fma_f64 v[62:63], s[42:43], v[58:59], v[78:79]
	v_add_f64 v[60:61], v[8:9], v[60:61]
	v_mul_f64 v[8:9], v[92:93], s[38:39]
	v_add_f64 v[62:63], v[62:63], v[74:75]
	v_fma_f64 v[38:39], s[44:45], v[90:91], v[8:9]
	v_add_f64 v[62:63], v[38:39], v[62:63]
	v_fma_f64 v[38:39], v[14:15], s[8:9], -v[70:71]
	v_fmac_f64_e32 v[72:73], s[10:11], v[16:17]
	v_add_f64 v[38:39], v[38:39], v[98:99]
	v_add_f64 v[70:71], v[72:73], v[100:101]
	v_fma_f64 v[72:73], v[32:33], s[6:7], -v[76:77]
	v_add_f64 v[38:39], v[72:73], v[38:39]
	v_fmac_f64_e32 v[82:83], s[4:5], v[34:35]
	v_fma_f64 v[72:73], v[56:57], s[36:37], -v[86:87]
	v_add_f64 v[70:71], v[82:83], v[70:71]
	v_add_f64 v[38:39], v[72:73], v[38:39]
	v_fmac_f64_e32 v[78:79], s[28:29], v[58:59]
	v_fma_f64 v[6:7], v[88:89], s[38:39], -v[6:7]
	v_add_f64 v[70:71], v[78:79], v[70:71]
	v_add_f64 v[6:7], v[6:7], v[38:39]
	v_fmac_f64_e32 v[8:9], s[34:35], v[90:91]
	v_mul_f64 v[38:39], v[24:25], s[28:29]
	v_add_f64 v[8:9], v[8:9], v[70:71]
	v_fma_f64 v[70:71], s[36:37], v[14:15], v[38:39]
	v_mul_f64 v[76:77], v[48:49], s[44:45]
	v_add_f64 v[70:71], v[70:71], v[102:103]
	v_mul_f64 v[74:75], v[22:23], s[36:37]
	v_fma_f64 v[78:79], s[38:39], v[32:33], v[76:77]
	v_fma_f64 v[72:73], s[42:43], v[16:17], v[74:75]
	v_add_f64 v[70:71], v[78:79], v[70:71]
	v_mul_f64 v[78:79], v[44:45], s[38:39]
	v_add_f64 v[72:73], v[72:73], v[104:105]
	v_fma_f64 v[82:83], s[34:35], v[34:35], v[78:79]
	v_add_f64 v[72:73], v[82:83], v[72:73]
	v_mul_f64 v[82:83], v[80:81], s[12:13]
	v_fma_f64 v[86:87], s[6:7], v[56:57], v[82:83]
	v_add_f64 v[70:71], v[86:87], v[70:71]
	v_mul_f64 v[86:87], v[84:85], s[6:7]
	v_fma_f64 v[38:39], v[14:15], s[36:37], -v[38:39]
	v_fmac_f64_e32 v[74:75], s[28:29], v[16:17]
	v_fma_f64 v[94:95], s[4:5], v[58:59], v[86:87]
	v_add_f64 v[38:39], v[38:39], v[66:67]
	v_add_f64 v[64:65], v[74:75], v[64:65]
	v_fma_f64 v[66:67], v[32:33], s[38:39], -v[76:77]
	v_fmac_f64_e32 v[78:79], s[44:45], v[34:35]
	v_add_f64 v[72:73], v[94:95], v[72:73]
	v_mul_f64 v[94:95], v[42:43], s[40:41]
	v_add_f64 v[38:39], v[66:67], v[38:39]
	v_add_f64 v[64:65], v[78:79], v[64:65]
	v_fma_f64 v[66:67], v[56:57], s[6:7], -v[82:83]
	v_fmac_f64_e32 v[86:87], s[12:13], v[58:59]
	v_add_f64 v[38:39], v[66:67], v[38:39]
	v_add_f64 v[66:67], v[86:87], v[64:65]
	v_fma_f64 v[64:65], v[88:89], s[2:3], -v[94:95]
	v_add_f64 v[64:65], v[64:65], v[38:39]
	v_mul_f64 v[38:39], v[24:25], s[44:45]
	v_fma_f64 v[74:75], s[38:39], v[14:15], v[38:39]
	v_add_f64 v[54:55], v[74:75], v[54:55]
	v_mul_f64 v[74:75], v[22:23], s[38:39]
	v_fma_f64 v[76:77], s[34:35], v[16:17], v[74:75]
	;; [unrolled: 3-line block ×4, first 2 shown]
	v_fma_f64 v[96:97], s[2:3], v[88:89], v[94:95]
	v_add_f64 v[52:53], v[82:83], v[52:53]
	v_mul_f64 v[82:83], v[80:81], s[0:1]
	v_add_f64 v[70:71], v[96:97], v[70:71]
	v_mul_f64 v[96:97], v[92:93], s[2:3]
	v_fma_f64 v[86:87], s[2:3], v[56:57], v[82:83]
	v_fma_f64 v[98:99], s[0:1], v[90:91], v[96:97]
	v_fmac_f64_e32 v[96:97], s[40:41], v[90:91]
	v_add_f64 v[54:55], v[86:87], v[54:55]
	v_mul_f64 v[86:87], v[84:85], s[2:3]
	v_fmac_f64_e32 v[74:75], s[44:45], v[16:17]
	v_add_f64 v[66:67], v[96:97], v[66:67]
	v_fma_f64 v[94:95], s[40:41], v[58:59], v[86:87]
	v_mul_f64 v[96:97], v[42:43], s[28:29]
	v_fma_f64 v[38:39], v[14:15], s[38:39], -v[38:39]
	v_add_f64 v[46:47], v[74:75], v[46:47]
	v_fmac_f64_e32 v[78:79], s[22:23], v[34:35]
	v_add_f64 v[72:73], v[98:99], v[72:73]
	v_add_f64 v[94:95], v[94:95], v[52:53]
	v_fma_f64 v[52:53], s[36:37], v[88:89], v[96:97]
	v_mul_f64 v[98:99], v[92:93], s[36:37]
	v_add_f64 v[38:39], v[38:39], v[50:51]
	v_fma_f64 v[50:51], v[32:33], s[8:9], -v[76:77]
	v_add_f64 v[46:47], v[78:79], v[46:47]
	v_fmac_f64_e32 v[86:87], s[0:1], v[58:59]
	v_add_f64 v[52:53], v[52:53], v[54:55]
	v_fma_f64 v[54:55], s[42:43], v[90:91], v[98:99]
	v_add_f64 v[38:39], v[50:51], v[38:39]
	v_fma_f64 v[50:51], v[56:57], s[2:3], -v[82:83]
	v_add_f64 v[46:47], v[86:87], v[46:47]
	v_fmac_f64_e32 v[98:99], s[28:29], v[90:91]
	v_add_f64 v[38:39], v[50:51], v[38:39]
	v_fma_f64 v[50:51], v[88:89], s[36:37], -v[96:97]
	v_add_f64 v[76:77], v[98:99], v[46:47]
	v_mul_f64 v[46:47], v[24:25], s[12:13]
	v_add_f64 v[74:75], v[50:51], v[38:39]
	v_fma_f64 v[38:39], s[6:7], v[14:15], v[46:47]
	v_add_f64 v[38:39], v[38:39], v[40:41]
	v_mul_f64 v[40:41], v[22:23], s[6:7]
	v_fma_f64 v[50:51], s[4:5], v[16:17], v[40:41]
	v_add_f64 v[36:37], v[50:51], v[36:37]
	v_mul_f64 v[50:51], v[48:49], s[0:1]
	;; [unrolled: 3-line block ×5, first 2 shown]
	v_fma_f64 v[46:47], v[14:15], s[6:7], -v[46:47]
	v_fmac_f64_e32 v[40:41], s[12:13], v[16:17]
	v_add_f64 v[54:55], v[54:55], v[94:95]
	v_fma_f64 v[94:95], s[44:45], v[58:59], v[86:87]
	v_mul_f64 v[96:97], v[42:43], s[22:23]
	v_add_f64 v[28:29], v[46:47], v[28:29]
	v_add_f64 v[26:27], v[40:41], v[26:27]
	v_fma_f64 v[40:41], v[32:33], s[2:3], -v[50:51]
	v_fmac_f64_e32 v[78:79], s[0:1], v[34:35]
	v_add_f64 v[94:95], v[94:95], v[36:37]
	v_fma_f64 v[36:37], s[8:9], v[88:89], v[96:97]
	v_mul_f64 v[98:99], v[92:93], s[8:9]
	v_add_f64 v[28:29], v[40:41], v[28:29]
	v_add_f64 v[26:27], v[78:79], v[26:27]
	v_fma_f64 v[40:41], v[56:57], s[38:39], -v[82:83]
	v_fmac_f64_e32 v[86:87], s[34:35], v[58:59]
	v_add_f64 v[36:37], v[36:37], v[38:39]
	v_fma_f64 v[38:39], s[10:11], v[90:91], v[98:99]
	v_add_f64 v[28:29], v[40:41], v[28:29]
	v_add_f64 v[40:41], v[86:87], v[26:27]
	v_fma_f64 v[26:27], v[88:89], s[8:9], -v[96:97]
	v_fmac_f64_e32 v[98:99], s[22:23], v[90:91]
	v_mul_f64 v[24:25], v[24:25], s[40:41]
	v_add_f64 v[26:27], v[26:27], v[28:29]
	v_add_f64 v[28:29], v[98:99], v[40:41]
	v_fma_f64 v[40:41], s[2:3], v[14:15], v[24:25]
	v_mul_f64 v[22:23], v[22:23], s[2:3]
	v_add_f64 v[20:21], v[40:41], v[20:21]
	v_fma_f64 v[40:41], s[0:1], v[16:17], v[22:23]
	v_add_f64 v[18:19], v[40:41], v[18:19]
	v_mul_f64 v[40:41], v[48:49], s[28:29]
	v_fma_f64 v[46:47], s[36:37], v[32:33], v[40:41]
	v_mul_f64 v[44:45], v[44:45], s[36:37]
	v_add_f64 v[20:21], v[46:47], v[20:21]
	v_fma_f64 v[46:47], s[42:43], v[34:35], v[44:45]
	v_add_f64 v[18:19], v[46:47], v[18:19]
	v_mul_f64 v[46:47], v[80:81], s[22:23]
	v_fma_f64 v[48:49], s[8:9], v[56:57], v[46:47]
	v_add_f64 v[20:21], v[48:49], v[20:21]
	v_mul_f64 v[48:49], v[84:85], s[8:9]
	v_fma_f64 v[14:15], v[14:15], s[2:3], -v[24:25]
	v_fmac_f64_e32 v[22:23], s[40:41], v[16:17]
	v_fma_f64 v[50:51], s[10:11], v[58:59], v[48:49]
	v_mul_f64 v[42:43], v[42:43], s[4:5]
	v_add_f64 v[12:13], v[14:15], v[12:13]
	v_add_f64 v[10:11], v[22:23], v[10:11]
	v_fma_f64 v[14:15], v[32:33], s[36:37], -v[40:41]
	v_fmac_f64_e32 v[44:45], s[28:29], v[34:35]
	v_add_f64 v[50:51], v[50:51], v[18:19]
	v_fma_f64 v[18:19], s[6:7], v[88:89], v[42:43]
	v_mul_f64 v[78:79], v[92:93], s[6:7]
	v_add_f64 v[12:13], v[14:15], v[12:13]
	v_add_f64 v[10:11], v[44:45], v[10:11]
	v_fma_f64 v[14:15], v[56:57], s[8:9], -v[46:47]
	v_fmac_f64_e32 v[48:49], s[22:23], v[58:59]
	v_add_f64 v[18:19], v[18:19], v[20:21]
	v_fma_f64 v[20:21], s[12:13], v[90:91], v[78:79]
	v_add_f64 v[12:13], v[14:15], v[12:13]
	v_add_f64 v[14:15], v[48:49], v[10:11]
	v_fma_f64 v[10:11], v[88:89], s[6:7], -v[42:43]
	v_fmac_f64_e32 v[78:79], s[4:5], v[90:91]
	v_add_f64 v[10:11], v[10:11], v[12:13]
	v_add_f64 v[12:13], v[78:79], v[14:15]
	v_mul_u32_u24_sdwa v14, v30, s46 dst_sel:DWORD dst_unused:UNUSED_PAD src0_sel:WORD_1 src1_sel:DWORD
	v_lshlrev_b32_e32 v15, 4, v68
	v_add3_u32 v14, 0, v14, v15
	v_mul_u32_u24_e32 v30, 0x21e, v0
	v_add_f64 v[38:39], v[38:39], v[94:95]
	v_add_f64 v[20:21], v[20:21], v[50:51]
	s_barrier
	ds_write_b128 v14, v[2:5]
	ds_write_b128 v14, v[60:63] offset:176
	ds_write_b128 v14, v[70:73] offset:352
	;; [unrolled: 1-line block ×10, first 2 shown]
	v_mul_lo_u16_sdwa v2, v30, s30 dst_sel:DWORD dst_unused:UNUSED_PAD src0_sel:WORD_1 src1_sel:DWORD
	v_sub_u16_e32 v2, v0, v2
	v_mul_lo_u16_e32 v2, 10, v2
	v_lshlrev_b32_e32 v14, 4, v2
	s_waitcnt lgkmcnt(0)
	s_barrier
	global_load_dwordx4 v[2:5], v14, s[16:17] offset:1760
	global_load_dwordx4 v[6:9], v14, s[16:17] offset:1776
	;; [unrolled: 1-line block ×10, first 2 shown]
	ds_read_b128 v[48:51], v1 offset:1936
	ds_read_b128 v[52:55], v1
	ds_read_b128 v[56:59], v1 offset:3872
	s_mul_i32 s30, s25, s27
	s_waitcnt vmcnt(9) lgkmcnt(2)
	v_mul_f64 v[28:29], v[50:51], v[4:5]
	v_mul_f64 v[4:5], v[48:49], v[4:5]
	v_fmac_f64_e32 v[28:29], v[48:49], v[2:3]
	v_fma_f64 v[64:65], v[50:51], v[2:3], -v[4:5]
	ds_read_b128 v[2:5], v1 offset:5808
	s_waitcnt vmcnt(8) lgkmcnt(1)
	v_mul_f64 v[66:67], v[58:59], v[8:9]
	v_mul_f64 v[8:9], v[56:57], v[8:9]
	v_fmac_f64_e32 v[66:67], v[56:57], v[6:7]
	v_fma_f64 v[70:71], v[58:59], v[6:7], -v[8:9]
	s_waitcnt vmcnt(7) lgkmcnt(0)
	v_mul_f64 v[72:73], v[4:5], v[12:13]
	ds_read_b128 v[6:9], v1 offset:7744
	v_fmac_f64_e32 v[72:73], v[2:3], v[10:11]
	v_mul_f64 v[2:3], v[2:3], v[12:13]
	v_fma_f64 v[74:75], v[4:5], v[10:11], -v[2:3]
	ds_read_b128 v[2:5], v1 offset:9680
	s_waitcnt vmcnt(6) lgkmcnt(1)
	v_mul_f64 v[14:15], v[8:9], v[18:19]
	v_fmac_f64_e32 v[14:15], v[6:7], v[16:17]
	v_mul_f64 v[6:7], v[6:7], v[18:19]
	v_fma_f64 v[16:17], v[8:9], v[16:17], -v[6:7]
	s_waitcnt vmcnt(5) lgkmcnt(0)
	v_mul_f64 v[6:7], v[4:5], v[22:23]
	v_fmac_f64_e32 v[6:7], v[2:3], v[20:21]
	v_mul_f64 v[2:3], v[2:3], v[22:23]
	ds_read_b128 v[48:51], v1 offset:11616
	v_fma_f64 v[8:9], v[4:5], v[20:21], -v[2:3]
	ds_read_b128 v[2:5], v1 offset:13552
	ds_read_b128 v[18:21], v1 offset:15488
	s_waitcnt vmcnt(4) lgkmcnt(2)
	v_mul_f64 v[12:13], v[48:49], v[26:27]
	v_fma_f64 v[12:13], v[50:51], v[24:25], -v[12:13]
	s_waitcnt vmcnt(3) lgkmcnt(1)
	v_mul_f64 v[60:61], v[4:5], v[34:35]
	v_fmac_f64_e32 v[60:61], v[2:3], v[32:33]
	v_mul_f64 v[2:3], v[2:3], v[34:35]
	v_fma_f64 v[62:63], v[4:5], v[32:33], -v[2:3]
	ds_read_b128 v[2:5], v1 offset:17424
	s_waitcnt vmcnt(2) lgkmcnt(1)
	v_mul_f64 v[76:77], v[20:21], v[38:39]
	v_fmac_f64_e32 v[76:77], v[18:19], v[36:37]
	v_mul_f64 v[18:19], v[18:19], v[38:39]
	v_fma_f64 v[78:79], v[20:21], v[36:37], -v[18:19]
	ds_read_b128 v[18:21], v1 offset:19360
	s_waitcnt vmcnt(1) lgkmcnt(1)
	v_mul_f64 v[36:37], v[4:5], v[42:43]
	v_fmac_f64_e32 v[36:37], v[2:3], v[40:41]
	v_mul_f64 v[2:3], v[2:3], v[42:43]
	v_fma_f64 v[38:39], v[4:5], v[40:41], -v[2:3]
	v_add_f64 v[4:5], v[54:55], v[64:65]
	s_waitcnt vmcnt(0) lgkmcnt(0)
	v_mul_f64 v[22:23], v[20:21], v[46:47]
	v_mul_f64 v[2:3], v[18:19], v[46:47]
	v_add_f64 v[4:5], v[4:5], v[70:71]
	v_fmac_f64_e32 v[22:23], v[18:19], v[44:45]
	v_fma_f64 v[18:19], v[20:21], v[44:45], -v[2:3]
	v_add_f64 v[2:3], v[52:53], v[28:29]
	v_add_f64 v[4:5], v[4:5], v[74:75]
	;; [unrolled: 1-line block ×6, first 2 shown]
	v_mul_f64 v[10:11], v[50:51], v[26:27]
	v_add_f64 v[2:3], v[2:3], v[14:15]
	v_add_f64 v[4:5], v[4:5], v[12:13]
	v_fmac_f64_e32 v[10:11], v[48:49], v[24:25]
	v_add_f64 v[2:3], v[2:3], v[6:7]
	v_add_f64 v[4:5], v[4:5], v[62:63]
	;; [unrolled: 1-line block ×9, first 2 shown]
	v_add_f64 v[18:19], v[64:65], -v[18:19]
	v_add_f64 v[2:3], v[2:3], v[36:37]
	v_add_f64 v[20:21], v[28:29], v[22:23]
	v_mul_f64 v[26:27], v[18:19], s[0:1]
	v_add_f64 v[2:3], v[2:3], v[22:23]
	v_add_f64 v[22:23], v[28:29], -v[22:23]
	v_fma_f64 v[28:29], s[2:3], v[20:21], v[26:27]
	v_fma_f64 v[26:27], v[20:21], s[2:3], -v[26:27]
	v_mul_f64 v[32:33], v[18:19], s[10:11]
	v_mul_f64 v[40:41], v[18:19], s[4:5]
	v_mul_f64 v[44:45], v[18:19], s[28:29]
	v_mul_f64 v[18:19], v[18:19], s[34:35]
	v_add_f64 v[94:95], v[52:53], v[28:29]
	v_add_f64 v[98:99], v[52:53], v[26:27]
	;; [unrolled: 1-line block ×3, first 2 shown]
	v_add_f64 v[28:29], v[66:67], -v[36:37]
	v_add_f64 v[36:37], v[70:71], v[38:39]
	v_add_f64 v[38:39], v[70:71], -v[38:39]
	v_fma_f64 v[34:35], s[8:9], v[20:21], v[32:33]
	v_fma_f64 v[32:33], v[20:21], s[8:9], -v[32:33]
	v_fma_f64 v[42:43], s[6:7], v[20:21], v[40:41]
	v_fma_f64 v[40:41], v[20:21], s[6:7], -v[40:41]
	;; [unrolled: 2-line block ×4, first 2 shown]
	v_mul_f64 v[20:21], v[24:25], s[2:3]
	v_mul_f64 v[50:51], v[24:25], s[8:9]
	v_mul_f64 v[82:83], v[24:25], s[6:7]
	v_mul_f64 v[86:87], v[24:25], s[36:37]
	v_mul_f64 v[90:91], v[24:25], s[38:39]
	v_mul_f64 v[70:71], v[38:39], s[10:11]
	v_fma_f64 v[48:49], s[40:41], v[22:23], v[20:21]
	v_fmac_f64_e32 v[20:21], s[0:1], v[22:23]
	v_fma_f64 v[56:57], s[22:23], v[22:23], v[50:51]
	v_fmac_f64_e32 v[50:51], s[10:11], v[22:23]
	;; [unrolled: 2-line block ×5, first 2 shown]
	v_add_f64 v[102:103], v[52:53], v[34:35]
	v_add_f64 v[34:35], v[52:53], v[44:45]
	;; [unrolled: 1-line block ×3, first 2 shown]
	v_fma_f64 v[44:45], s[8:9], v[26:27], v[70:71]
	v_mul_f64 v[80:81], v[36:37], s[8:9]
	v_add_f64 v[96:97], v[54:55], v[48:49]
	v_add_f64 v[100:101], v[54:55], v[20:21]
	;; [unrolled: 1-line block ×14, first 2 shown]
	v_fma_f64 v[44:45], s[22:23], v[28:29], v[80:81]
	v_add_f64 v[54:55], v[74:75], -v[78:79]
	v_add_f64 v[58:59], v[52:53], v[42:43]
	v_add_f64 v[42:43], v[52:53], v[46:47]
	;; [unrolled: 1-line block ×4, first 2 shown]
	v_add_f64 v[46:47], v[72:73], -v[76:77]
	v_add_f64 v[52:53], v[74:75], v[78:79]
	v_mul_f64 v[72:73], v[54:55], s[4:5]
	v_fma_f64 v[74:75], s[6:7], v[44:45], v[72:73]
	v_mul_f64 v[76:77], v[52:53], s[6:7]
	v_add_f64 v[74:75], v[74:75], v[66:67]
	v_fma_f64 v[66:67], s[12:13], v[46:47], v[76:77]
	v_add_f64 v[78:79], v[66:67], v[82:83]
	v_add_f64 v[82:83], v[16:17], v[62:63]
	v_add_f64 v[62:63], v[16:17], -v[62:63]
	v_add_f64 v[66:67], v[14:15], v[60:61]
	v_mul_f64 v[84:85], v[62:63], s[28:29]
	v_add_f64 v[60:61], v[14:15], -v[60:61]
	v_fma_f64 v[14:15], s[36:37], v[66:67], v[84:85]
	v_add_f64 v[14:15], v[14:15], v[74:75]
	v_mul_f64 v[74:75], v[82:83], s[36:37]
	v_fma_f64 v[16:17], s[42:43], v[60:61], v[74:75]
	v_add_f64 v[90:91], v[8:9], -v[12:13]
	v_add_f64 v[16:17], v[16:17], v[78:79]
	v_add_f64 v[78:79], v[6:7], v[10:11]
	v_add_f64 v[86:87], v[6:7], -v[10:11]
	v_mul_f64 v[6:7], v[90:91], s[34:35]
	v_add_f64 v[88:89], v[8:9], v[12:13]
	v_fma_f64 v[8:9], s[38:39], v[78:79], v[6:7]
	v_add_f64 v[14:15], v[8:9], v[14:15]
	v_mul_f64 v[8:9], v[88:89], s[38:39]
	v_fma_f64 v[10:11], s[44:45], v[86:87], v[8:9]
	v_add_f64 v[16:17], v[10:11], v[16:17]
	v_fma_f64 v[10:11], v[26:27], s[8:9], -v[70:71]
	v_add_f64 v[10:11], v[10:11], v[98:99]
	v_fmac_f64_e32 v[80:81], s[10:11], v[28:29]
	v_fma_f64 v[70:71], v[44:45], s[6:7], -v[72:73]
	v_add_f64 v[12:13], v[80:81], v[100:101]
	v_add_f64 v[10:11], v[70:71], v[10:11]
	v_fmac_f64_e32 v[76:77], s[4:5], v[46:47]
	v_fma_f64 v[70:71], v[66:67], s[36:37], -v[84:85]
	v_add_f64 v[12:13], v[76:77], v[12:13]
	;; [unrolled: 4-line block ×3, first 2 shown]
	v_add_f64 v[6:7], v[6:7], v[10:11]
	v_fmac_f64_e32 v[8:9], s[34:35], v[86:87]
	v_mul_f64 v[10:11], v[38:39], s[28:29]
	v_add_f64 v[8:9], v[8:9], v[12:13]
	v_fma_f64 v[12:13], s[36:37], v[26:27], v[10:11]
	v_mul_f64 v[74:75], v[36:37], s[36:37]
	v_mul_f64 v[76:77], v[54:55], s[44:45]
	v_add_f64 v[12:13], v[12:13], v[102:103]
	v_fma_f64 v[70:71], s[42:43], v[28:29], v[74:75]
	v_fma_f64 v[72:73], s[38:39], v[44:45], v[76:77]
	v_mul_f64 v[80:81], v[52:53], s[38:39]
	v_add_f64 v[70:71], v[70:71], v[104:105]
	v_add_f64 v[12:13], v[72:73], v[12:13]
	v_fma_f64 v[72:73], s[34:35], v[46:47], v[80:81]
	v_mul_f64 v[84:85], v[62:63], s[12:13]
	v_add_f64 v[70:71], v[72:73], v[70:71]
	v_fma_f64 v[72:73], s[6:7], v[66:67], v[84:85]
	v_mul_f64 v[92:93], v[82:83], s[6:7]
	;; [unrolled: 3-line block ×3, first 2 shown]
	v_fmac_f64_e32 v[74:75], s[28:29], v[28:29]
	v_add_f64 v[72:73], v[72:73], v[70:71]
	v_fma_f64 v[70:71], s[2:3], v[78:79], v[94:95]
	v_fma_f64 v[10:11], v[26:27], s[36:37], -v[10:11]
	v_add_f64 v[64:65], v[74:75], v[64:65]
	v_fmac_f64_e32 v[80:81], s[44:45], v[46:47]
	v_add_f64 v[70:71], v[70:71], v[12:13]
	v_mul_f64 v[12:13], v[88:89], s[2:3]
	v_add_f64 v[10:11], v[10:11], v[68:69]
	v_fma_f64 v[68:69], v[44:45], s[38:39], -v[76:77]
	v_add_f64 v[64:65], v[80:81], v[64:65]
	v_fmac_f64_e32 v[92:93], s[12:13], v[60:61]
	v_fma_f64 v[96:97], s[0:1], v[86:87], v[12:13]
	v_add_f64 v[10:11], v[68:69], v[10:11]
	v_fma_f64 v[68:69], v[66:67], s[6:7], -v[84:85]
	v_add_f64 v[64:65], v[92:93], v[64:65]
	v_fmac_f64_e32 v[12:13], s[40:41], v[86:87]
	v_add_f64 v[10:11], v[68:69], v[10:11]
	v_fma_f64 v[68:69], v[78:79], s[2:3], -v[94:95]
	v_add_f64 v[12:13], v[12:13], v[64:65]
	v_mul_f64 v[64:65], v[38:39], s[44:45]
	v_add_f64 v[10:11], v[68:69], v[10:11]
	v_fma_f64 v[68:69], s[38:39], v[26:27], v[64:65]
	v_add_f64 v[58:59], v[68:69], v[58:59]
	v_mul_f64 v[68:69], v[36:37], s[38:39]
	v_fma_f64 v[74:75], s[34:35], v[28:29], v[68:69]
	v_add_f64 v[56:57], v[74:75], v[56:57]
	v_mul_f64 v[74:75], v[54:55], s[22:23]
	;; [unrolled: 3-line block ×5, first 2 shown]
	v_fma_f64 v[64:65], v[26:27], s[38:39], -v[64:65]
	v_fmac_f64_e32 v[68:69], s[44:45], v[28:29]
	v_fma_f64 v[92:93], s[40:41], v[60:61], v[84:85]
	v_mul_f64 v[94:95], v[90:91], s[28:29]
	v_add_f64 v[50:51], v[64:65], v[50:51]
	v_add_f64 v[48:49], v[68:69], v[48:49]
	v_fma_f64 v[64:65], v[44:45], s[8:9], -v[74:75]
	v_fmac_f64_e32 v[76:77], s[22:23], v[46:47]
	v_add_f64 v[72:73], v[96:97], v[72:73]
	v_add_f64 v[92:93], v[92:93], v[56:57]
	v_fma_f64 v[56:57], s[36:37], v[78:79], v[94:95]
	v_mul_f64 v[96:97], v[88:89], s[36:37]
	v_add_f64 v[50:51], v[64:65], v[50:51]
	v_add_f64 v[48:49], v[76:77], v[48:49]
	v_fma_f64 v[64:65], v[66:67], s[2:3], -v[80:81]
	v_fmac_f64_e32 v[84:85], s[0:1], v[60:61]
	v_add_f64 v[56:57], v[56:57], v[58:59]
	v_fma_f64 v[58:59], s[42:43], v[86:87], v[96:97]
	v_add_f64 v[50:51], v[64:65], v[50:51]
	v_add_f64 v[64:65], v[84:85], v[48:49]
	v_fma_f64 v[48:49], v[78:79], s[36:37], -v[94:95]
	v_fmac_f64_e32 v[96:97], s[28:29], v[86:87]
	v_add_f64 v[48:49], v[48:49], v[50:51]
	v_add_f64 v[50:51], v[96:97], v[64:65]
	v_mul_f64 v[64:65], v[38:39], s[12:13]
	v_fma_f64 v[68:69], s[6:7], v[26:27], v[64:65]
	v_add_f64 v[42:43], v[68:69], v[42:43]
	v_mul_f64 v[68:69], v[36:37], s[6:7]
	v_fma_f64 v[74:75], s[4:5], v[28:29], v[68:69]
	;; [unrolled: 3-line block ×3, first 2 shown]
	v_fma_f64 v[64:65], v[26:27], s[6:7], -v[64:65]
	v_mul_f64 v[38:39], v[38:39], s[40:41]
	v_add_f64 v[42:43], v[76:77], v[42:43]
	v_mul_f64 v[76:77], v[52:53], s[2:3]
	v_add_f64 v[34:35], v[64:65], v[34:35]
	v_fma_f64 v[64:65], s[2:3], v[26:27], v[38:39]
	v_mul_f64 v[36:37], v[36:37], s[2:3]
	v_fma_f64 v[80:81], s[40:41], v[46:47], v[76:77]
	v_fmac_f64_e32 v[68:69], s[12:13], v[28:29]
	v_add_f64 v[24:25], v[64:65], v[24:25]
	v_fma_f64 v[64:65], s[0:1], v[28:29], v[36:37]
	v_fmac_f64_e32 v[76:77], s[0:1], v[46:47]
	s_movk_i32 s0, 0x4ba
	v_add_f64 v[32:33], v[68:69], v[32:33]
	v_fma_f64 v[26:27], v[26:27], s[2:3], -v[38:39]
	v_mul_lo_u16_sdwa v1, v30, s0 dst_sel:DWORD dst_unused:UNUSED_PAD src0_sel:WORD_1 src1_sel:DWORD
	s_lshl_b64 s[0:1], s[20:21], 4
	v_add_f64 v[20:21], v[26:27], v[20:21]
	v_fmac_f64_e32 v[36:37], s[40:41], v[28:29]
	v_fma_f64 v[26:27], v[44:45], s[2:3], -v[74:75]
	v_add_f64 v[28:29], v[76:77], v[32:33]
	v_mul_f64 v[32:33], v[54:55], s[28:29]
	s_add_u32 s2, s14, s0
	v_add_f64 v[40:41], v[80:81], v[40:41]
	v_mul_f64 v[80:81], v[62:63], s[34:35]
	v_add_f64 v[26:27], v[26:27], v[34:35]
	v_fma_f64 v[34:35], s[36:37], v[44:45], v[32:33]
	v_fma_f64 v[32:33], v[44:45], s[36:37], -v[32:33]
	s_addc_u32 s3, s15, s1
	s_lshl_b64 s[0:1], s[18:19], 4
	v_add_f64 v[24:25], v[34:35], v[24:25]
	v_mul_f64 v[34:35], v[52:53], s[36:37]
	v_add_f64 v[20:21], v[32:33], v[20:21]
	v_fma_f64 v[32:33], v[66:67], s[38:39], -v[80:81]
	s_add_u32 s2, s2, s0
	v_add_f64 v[18:19], v[36:37], v[18:19]
	v_fma_f64 v[36:37], s[42:43], v[46:47], v[34:35]
	v_fmac_f64_e32 v[34:35], s[28:29], v[46:47]
	v_add_f64 v[26:27], v[32:33], v[26:27]
	v_mul_f64 v[32:33], v[62:63], s[22:23]
	s_addc_u32 s3, s3, s1
	s_lshl_b64 s[0:1], s[30:31], 4
	v_fma_f64 v[84:85], s[38:39], v[66:67], v[80:81]
	v_add_f64 v[18:19], v[34:35], v[18:19]
	v_fma_f64 v[34:35], s[8:9], v[66:67], v[32:33]
	v_add_u32_e32 v0, v0, v1
	s_add_u32 s0, s2, s0
	v_add_f64 v[42:43], v[84:85], v[42:43]
	v_mul_f64 v[84:85], v[82:83], s[38:39]
	v_add_f64 v[22:23], v[64:65], v[22:23]
	v_add_f64 v[24:25], v[34:35], v[24:25]
	v_mul_f64 v[34:35], v[82:83], s[8:9]
	v_mul_lo_u32 v30, v0, s26
	s_addc_u32 s1, s3, s1
	s_mul_i32 s2, s26, 0x79
	v_add_f64 v[58:59], v[58:59], v[92:93]
	v_fma_f64 v[92:93], s[44:45], v[60:61], v[84:85]
	v_mul_f64 v[94:95], v[90:91], s[22:23]
	v_add_f64 v[22:23], v[36:37], v[22:23]
	v_fma_f64 v[36:37], s[10:11], v[60:61], v[34:35]
	v_fmac_f64_e32 v[34:35], s[22:23], v[60:61]
	v_lshl_add_u64 v[0:1], v[30:31], 4, s[0:1]
	v_add_u32_e32 v30, s2, v30
	v_add_f64 v[92:93], v[92:93], v[40:41]
	v_fma_f64 v[40:41], s[8:9], v[78:79], v[94:95]
	v_mul_f64 v[96:97], v[88:89], s[8:9]
	v_fmac_f64_e32 v[84:85], s[34:35], v[60:61]
	v_add_f64 v[34:35], v[34:35], v[18:19]
	v_fma_f64 v[18:19], v[78:79], s[8:9], -v[94:95]
	global_store_dwordx4 v[0:1], v[2:5], off
	v_lshl_add_u64 v[0:1], v[30:31], 4, s[0:1]
	v_add_u32_e32 v30, s2, v30
	v_add_f64 v[40:41], v[40:41], v[42:43]
	v_fma_f64 v[42:43], s[10:11], v[86:87], v[96:97]
	v_add_f64 v[28:29], v[84:85], v[28:29]
	v_add_f64 v[36:37], v[36:37], v[22:23]
	v_fma_f64 v[22:23], v[66:67], s[8:9], -v[32:33]
	v_add_f64 v[18:19], v[18:19], v[26:27]
	v_fmac_f64_e32 v[96:97], s[22:23], v[86:87]
	v_mul_f64 v[26:27], v[90:91], s[4:5]
	global_store_dwordx4 v[0:1], v[14:17], off
	v_lshl_add_u64 v[0:1], v[30:31], 4, s[0:1]
	v_add_u32_e32 v30, s2, v30
	v_add_f64 v[32:33], v[22:23], v[20:21]
	v_add_f64 v[20:21], v[96:97], v[28:29]
	v_fma_f64 v[22:23], s[6:7], v[78:79], v[26:27]
	v_mul_f64 v[28:29], v[88:89], s[6:7]
	global_store_dwordx4 v[0:1], v[70:73], off
	v_lshl_add_u64 v[0:1], v[30:31], 4, s[0:1]
	v_add_u32_e32 v30, s2, v30
	v_add_f64 v[42:43], v[42:43], v[92:93]
	v_add_f64 v[22:23], v[22:23], v[24:25]
	v_fma_f64 v[24:25], s[12:13], v[86:87], v[28:29]
	global_store_dwordx4 v[0:1], v[56:59], off
	v_lshl_add_u64 v[0:1], v[30:31], 4, s[0:1]
	v_add_u32_e32 v30, s2, v30
	v_add_f64 v[24:25], v[24:25], v[36:37]
	v_fma_f64 v[26:27], v[78:79], s[6:7], -v[26:27]
	v_fmac_f64_e32 v[28:29], s[4:5], v[86:87]
	global_store_dwordx4 v[0:1], v[40:43], off
	v_lshl_add_u64 v[0:1], v[30:31], 4, s[0:1]
	v_add_u32_e32 v30, s2, v30
	v_add_f64 v[26:27], v[26:27], v[32:33]
	v_add_f64 v[28:29], v[28:29], v[34:35]
	global_store_dwordx4 v[0:1], v[22:25], off
	v_lshl_add_u64 v[0:1], v[30:31], 4, s[0:1]
	v_add_u32_e32 v30, s2, v30
	global_store_dwordx4 v[0:1], v[26:29], off
	v_lshl_add_u64 v[0:1], v[30:31], 4, s[0:1]
	v_add_u32_e32 v30, s2, v30
	;; [unrolled: 3-line block ×4, first 2 shown]
	global_store_dwordx4 v[0:1], v[10:13], off
	v_lshl_add_u64 v[0:1], v[30:31], 4, s[0:1]
	global_store_dwordx4 v[0:1], v[6:9], off
	s_endpgm
	.section	.rodata,"a",@progbits
	.p2align	6, 0x0
	.amdhsa_kernel fft_rtc_back_len1331_factors_11_11_11_wgs_121_tpt_121_dp_op_CI_CI_sbrc_xy_z_diag_dirReg
		.amdhsa_group_segment_fixed_size 0
		.amdhsa_private_segment_fixed_size 0
		.amdhsa_kernarg_size 104
		.amdhsa_user_sgpr_count 2
		.amdhsa_user_sgpr_dispatch_ptr 0
		.amdhsa_user_sgpr_queue_ptr 0
		.amdhsa_user_sgpr_kernarg_segment_ptr 1
		.amdhsa_user_sgpr_dispatch_id 0
		.amdhsa_user_sgpr_kernarg_preload_length 0
		.amdhsa_user_sgpr_kernarg_preload_offset 0
		.amdhsa_user_sgpr_private_segment_size 0
		.amdhsa_uses_dynamic_stack 0
		.amdhsa_enable_private_segment 0
		.amdhsa_system_sgpr_workgroup_id_x 1
		.amdhsa_system_sgpr_workgroup_id_y 0
		.amdhsa_system_sgpr_workgroup_id_z 0
		.amdhsa_system_sgpr_workgroup_info 0
		.amdhsa_system_vgpr_workitem_id 0
		.amdhsa_next_free_vgpr 106
		.amdhsa_next_free_sgpr 47
		.amdhsa_accum_offset 108
		.amdhsa_reserve_vcc 1
		.amdhsa_float_round_mode_32 0
		.amdhsa_float_round_mode_16_64 0
		.amdhsa_float_denorm_mode_32 3
		.amdhsa_float_denorm_mode_16_64 3
		.amdhsa_dx10_clamp 1
		.amdhsa_ieee_mode 1
		.amdhsa_fp16_overflow 0
		.amdhsa_tg_split 0
		.amdhsa_exception_fp_ieee_invalid_op 0
		.amdhsa_exception_fp_denorm_src 0
		.amdhsa_exception_fp_ieee_div_zero 0
		.amdhsa_exception_fp_ieee_overflow 0
		.amdhsa_exception_fp_ieee_underflow 0
		.amdhsa_exception_fp_ieee_inexact 0
		.amdhsa_exception_int_div_zero 0
	.end_amdhsa_kernel
	.text
.Lfunc_end0:
	.size	fft_rtc_back_len1331_factors_11_11_11_wgs_121_tpt_121_dp_op_CI_CI_sbrc_xy_z_diag_dirReg, .Lfunc_end0-fft_rtc_back_len1331_factors_11_11_11_wgs_121_tpt_121_dp_op_CI_CI_sbrc_xy_z_diag_dirReg
                                        ; -- End function
	.section	.AMDGPU.csdata,"",@progbits
; Kernel info:
; codeLenInByte = 10260
; NumSgprs: 53
; NumVgprs: 106
; NumAgprs: 0
; TotalNumVgprs: 106
; ScratchSize: 0
; MemoryBound: 0
; FloatMode: 240
; IeeeMode: 1
; LDSByteSize: 0 bytes/workgroup (compile time only)
; SGPRBlocks: 6
; VGPRBlocks: 13
; NumSGPRsForWavesPerEU: 53
; NumVGPRsForWavesPerEU: 106
; AccumOffset: 108
; Occupancy: 4
; WaveLimiterHint : 1
; COMPUTE_PGM_RSRC2:SCRATCH_EN: 0
; COMPUTE_PGM_RSRC2:USER_SGPR: 2
; COMPUTE_PGM_RSRC2:TRAP_HANDLER: 0
; COMPUTE_PGM_RSRC2:TGID_X_EN: 1
; COMPUTE_PGM_RSRC2:TGID_Y_EN: 0
; COMPUTE_PGM_RSRC2:TGID_Z_EN: 0
; COMPUTE_PGM_RSRC2:TIDIG_COMP_CNT: 0
; COMPUTE_PGM_RSRC3_GFX90A:ACCUM_OFFSET: 26
; COMPUTE_PGM_RSRC3_GFX90A:TG_SPLIT: 0
	.text
	.p2alignl 6, 3212836864
	.fill 256, 4, 3212836864
	.type	__hip_cuid_6c24f4679b83052c,@object ; @__hip_cuid_6c24f4679b83052c
	.section	.bss,"aw",@nobits
	.globl	__hip_cuid_6c24f4679b83052c
__hip_cuid_6c24f4679b83052c:
	.byte	0                               ; 0x0
	.size	__hip_cuid_6c24f4679b83052c, 1

	.ident	"AMD clang version 19.0.0git (https://github.com/RadeonOpenCompute/llvm-project roc-6.4.0 25133 c7fe45cf4b819c5991fe208aaa96edf142730f1d)"
	.section	".note.GNU-stack","",@progbits
	.addrsig
	.addrsig_sym __hip_cuid_6c24f4679b83052c
	.amdgpu_metadata
---
amdhsa.kernels:
  - .agpr_count:     0
    .args:
      - .actual_access:  read_only
        .address_space:  global
        .offset:         0
        .size:           8
        .value_kind:     global_buffer
      - .offset:         8
        .size:           8
        .value_kind:     by_value
      - .actual_access:  read_only
        .address_space:  global
        .offset:         16
        .size:           8
        .value_kind:     global_buffer
      - .actual_access:  read_only
        .address_space:  global
        .offset:         24
        .size:           8
        .value_kind:     global_buffer
      - .actual_access:  read_only
        .address_space:  global
        .offset:         32
        .size:           8
        .value_kind:     global_buffer
      - .offset:         40
        .size:           8
        .value_kind:     by_value
      - .actual_access:  read_only
        .address_space:  global
        .offset:         48
        .size:           8
        .value_kind:     global_buffer
      - .actual_access:  read_only
        .address_space:  global
        .offset:         56
        .size:           8
        .value_kind:     global_buffer
      - .offset:         64
        .size:           4
        .value_kind:     by_value
      - .actual_access:  read_only
        .address_space:  global
        .offset:         72
        .size:           8
        .value_kind:     global_buffer
      - .actual_access:  read_only
        .address_space:  global
        .offset:         80
        .size:           8
        .value_kind:     global_buffer
      - .actual_access:  read_only
        .address_space:  global
        .offset:         88
        .size:           8
        .value_kind:     global_buffer
      - .actual_access:  write_only
        .address_space:  global
        .offset:         96
        .size:           8
        .value_kind:     global_buffer
    .group_segment_fixed_size: 0
    .kernarg_segment_align: 8
    .kernarg_segment_size: 104
    .language:       OpenCL C
    .language_version:
      - 2
      - 0
    .max_flat_workgroup_size: 121
    .name:           fft_rtc_back_len1331_factors_11_11_11_wgs_121_tpt_121_dp_op_CI_CI_sbrc_xy_z_diag_dirReg
    .private_segment_fixed_size: 0
    .sgpr_count:     53
    .sgpr_spill_count: 0
    .symbol:         fft_rtc_back_len1331_factors_11_11_11_wgs_121_tpt_121_dp_op_CI_CI_sbrc_xy_z_diag_dirReg.kd
    .uniform_work_group_size: 1
    .uses_dynamic_stack: false
    .vgpr_count:     106
    .vgpr_spill_count: 0
    .wavefront_size: 64
amdhsa.target:   amdgcn-amd-amdhsa--gfx950
amdhsa.version:
  - 1
  - 2
...

	.end_amdgpu_metadata
